;; amdgpu-corpus repo=ROCm/rocFFT kind=compiled arch=gfx1201 opt=O3
	.text
	.amdgcn_target "amdgcn-amd-amdhsa--gfx1201"
	.amdhsa_code_object_version 6
	.protected	fft_rtc_fwd_len81_factors_3_9_3_wgs_189_tpt_9_dim2_dp_op_CI_CI_sbcc_twdbase8_3step ; -- Begin function fft_rtc_fwd_len81_factors_3_9_3_wgs_189_tpt_9_dim2_dp_op_CI_CI_sbcc_twdbase8_3step
	.globl	fft_rtc_fwd_len81_factors_3_9_3_wgs_189_tpt_9_dim2_dp_op_CI_CI_sbcc_twdbase8_3step
	.p2align	8
	.type	fft_rtc_fwd_len81_factors_3_9_3_wgs_189_tpt_9_dim2_dp_op_CI_CI_sbcc_twdbase8_3step,@function
fft_rtc_fwd_len81_factors_3_9_3_wgs_189_tpt_9_dim2_dp_op_CI_CI_sbcc_twdbase8_3step: ; @fft_rtc_fwd_len81_factors_3_9_3_wgs_189_tpt_9_dim2_dp_op_CI_CI_sbcc_twdbase8_3step
; %bb.0:
	s_load_b64 s[2:3], s[0:1], 0x10
	s_mov_b32 s7, 0
	s_mov_b32 s4, 0x30c26c00
	;; [unrolled: 1-line block ×4, first 2 shown]
	s_load_b64 s[12:13], s[0:1], 0x20
	s_add_nc_u64 s[8:9], s[6:7], s[4:5]
	s_movk_i32 s4, 0xffeb
	s_mov_b32 s5, -1
	s_add_co_i32 s9, s9, 0xc30c2e0
	s_delay_alu instid0(SALU_CYCLE_1) | instskip(NEXT) | instid1(SALU_CYCLE_1)
	s_mul_u64 s[10:11], s[8:9], s[4:5]
	s_mul_hi_u32 s6, s8, s10
	s_mul_i32 s15, s9, s10
	s_mul_hi_u32 s14, s9, s10
	s_mul_hi_u32 s16, s9, s11
	s_mul_i32 s10, s9, s11
	s_wait_kmcnt 0x0
	s_load_b64 s[4:5], s[2:3], 0x8
	s_mul_hi_u32 s3, s8, s11
	s_mul_i32 s2, s8, s11
	s_delay_alu instid0(SALU_CYCLE_1) | instskip(NEXT) | instid1(SALU_CYCLE_1)
	s_add_nc_u64 s[2:3], s[6:7], s[2:3]
	s_add_co_u32 s2, s2, s15
	s_add_co_ci_u32 s6, s3, s14
	s_add_co_ci_u32 s11, s16, 0
	s_load_b64 s[16:17], s[0:1], 0x0
	s_add_nc_u64 s[2:3], s[6:7], s[10:11]
	s_delay_alu instid0(SALU_CYCLE_1) | instskip(NEXT) | instid1(VALU_DEP_1)
	v_add_co_u32 v1, s2, s8, s2
	s_cmp_lg_u32 s2, 0
	s_add_co_ci_u32 s10, s9, s3
	s_delay_alu instid0(VALU_DEP_1)
	v_readfirstlane_b32 s11, v1
	s_wait_kmcnt 0x0
	s_add_nc_u64 s[2:3], s[4:5], -1
	s_wait_alu 0xfffe
	s_mul_hi_u32 s9, s2, s10
	s_mul_i32 s8, s2, s10
	s_mul_hi_u32 s6, s2, s11
	s_mul_hi_u32 s15, s3, s11
	s_mul_i32 s11, s3, s11
	s_wait_alu 0xfffe
	s_add_nc_u64 s[8:9], s[6:7], s[8:9]
	s_mul_hi_u32 s14, s3, s10
	s_wait_alu 0xfffe
	s_add_co_u32 s6, s8, s11
	s_add_co_ci_u32 s6, s9, s15
	s_mul_i32 s10, s3, s10
	s_add_co_ci_u32 s11, s14, 0
	s_delay_alu instid0(SALU_CYCLE_1) | instskip(SKIP_2) | instid1(SALU_CYCLE_1)
	s_add_nc_u64 s[8:9], s[6:7], s[10:11]
	s_wait_alu 0xfffe
	s_mul_u64 s[10:11], s[8:9], 21
	v_sub_co_u32 v1, s2, s2, s10
	s_delay_alu instid0(VALU_DEP_1) | instskip(SKIP_1) | instid1(VALU_DEP_1)
	s_cmp_lg_u32 s2, 0
	s_sub_co_ci_u32 s14, s3, s11
	v_sub_co_u32 v2, s6, v1, 21
	s_delay_alu instid0(VALU_DEP_1) | instskip(SKIP_2) | instid1(VALU_DEP_1)
	s_cmp_lg_u32 s6, 0
	s_add_nc_u64 s[10:11], s[8:9], 2
	s_sub_co_ci_u32 s6, s14, 0
	v_readfirstlane_b32 s2, v2
	s_delay_alu instid0(VALU_DEP_1)
	s_cmp_gt_u32 s2, 20
	s_add_nc_u64 s[2:3], s[8:9], 1
	s_cselect_b32 s15, -1, 0
	s_cmp_eq_u32 s6, 0
	s_cselect_b32 s6, s15, -1
	v_readfirstlane_b32 s15, v1
	s_cmp_lg_u32 s6, 0
	s_wait_alu 0xfffe
	s_cselect_b32 s2, s10, s2
	s_cselect_b32 s3, s11, s3
	s_cmp_gt_u32 s15, 20
	s_cselect_b32 s6, -1, 0
	s_cmp_eq_u32 s14, 0
	s_cselect_b32 s6, s6, -1
	s_delay_alu instid0(SALU_CYCLE_1)
	s_cmp_lg_u32 s6, 0
	s_mov_b32 s6, ttmp9
	s_wait_alu 0xfffe
	s_cselect_b32 s3, s3, s9
	s_cselect_b32 s2, s2, s8
	s_wait_alu 0xfffe
	s_add_nc_u64 s[8:9], s[2:3], 1
	s_wait_alu 0xfffe
	v_cmp_lt_u64_e64 s2, s[6:7], s[8:9]
	s_delay_alu instid0(VALU_DEP_1)
	s_and_b32 vcc_lo, exec_lo, s2
	s_mov_b64 s[2:3], 0
	s_cbranch_vccnz .LBB0_2
; %bb.1:
	v_cvt_f32_u32_e32 v1, s8
	s_sub_co_i32 s3, 0, s8
	s_delay_alu instid0(VALU_DEP_1) | instskip(NEXT) | instid1(TRANS32_DEP_1)
	v_rcp_iflag_f32_e32 v1, v1
	v_mul_f32_e32 v1, 0x4f7ffffe, v1
	s_delay_alu instid0(VALU_DEP_1) | instskip(NEXT) | instid1(VALU_DEP_1)
	v_cvt_u32_f32_e32 v1, v1
	v_readfirstlane_b32 s2, v1
	s_wait_alu 0xfffe
	s_delay_alu instid0(VALU_DEP_1)
	s_mul_i32 s3, s3, s2
	s_wait_alu 0xfffe
	s_mul_hi_u32 s3, s2, s3
	s_wait_alu 0xfffe
	s_add_co_i32 s2, s2, s3
	s_wait_alu 0xfffe
	s_mul_hi_u32 s2, s6, s2
	s_wait_alu 0xfffe
	s_mul_i32 s3, s2, s8
	s_add_co_i32 s10, s2, 1
	s_wait_alu 0xfffe
	s_sub_co_i32 s3, s6, s3
	s_wait_alu 0xfffe
	s_sub_co_i32 s11, s3, s8
	s_cmp_ge_u32 s3, s8
	s_cselect_b32 s2, s10, s2
	s_wait_alu 0xfffe
	s_cselect_b32 s3, s11, s3
	s_add_co_i32 s10, s2, 1
	s_wait_alu 0xfffe
	s_cmp_ge_u32 s3, s8
	s_mov_b32 s3, s7
	s_cselect_b32 s2, s10, s2
.LBB0_2:
	v_mul_u32_u24_e32 v1, 0xc31, v0
	s_wait_alu 0xfffe
	s_mul_u64 s[8:9], s[2:3], s[8:9]
	s_wait_alu 0xfffe
	s_sub_nc_u64 s[6:7], s[6:7], s[8:9]
	s_wait_alu 0xfffe
	s_mul_u64 s[8:9], s[6:7], 21
	v_lshrrev_b32_e32 v71, 16, v1
	s_wait_alu 0xfffe
	s_add_nc_u64 s[6:7], s[8:9], 21
	s_wait_alu 0xfffe
	v_cmp_le_u64_e64 s6, s[6:7], s[4:5]
	v_mul_lo_u16 v1, v71, 21
	v_lshlrev_b32_e32 v74, 4, v71
	v_add_nc_u32_e32 v72, 9, v71
	v_add_nc_u32_e32 v70, 18, v71
	;; [unrolled: 1-line block ×3, first 2 shown]
	v_sub_nc_u16 v1, v0, v1
	v_add_nc_u32_e32 v68, 36, v71
	v_add_nc_u32_e32 v67, 45, v71
	;; [unrolled: 1-line block ×4, first 2 shown]
	v_and_b32_e32 v73, 0xffff, v1
	v_add_nc_u32_e32 v64, 0x48, v71
	s_delay_alu instid0(VALU_DEP_2) | instskip(SKIP_3) | instid1(VALU_DEP_2)
	v_add_co_u32 v1, s7, s8, v73
	s_wait_alu 0xf1ff
	v_add_co_ci_u32_e64 v2, null, s9, 0, s7
	v_mul_u32_u24_e32 v75, 0x510, v73
	v_cmp_gt_u64_e32 vcc_lo, s[4:5], v[1:2]
	s_or_b32 s22, s6, vcc_lo
	s_delay_alu instid0(SALU_CYCLE_1)
	s_and_saveexec_b32 s14, s22
	s_cbranch_execz .LBB0_4
; %bb.3:
	s_clause 0x1
	s_load_b64 s[4:5], s[0:1], 0x18
	s_load_b64 s[10:11], s[0:1], 0x58
	v_add3_u32 v37, 0, v75, v74
	s_wait_kmcnt 0x0
	s_clause 0x1
	s_load_b64 s[18:19], s[4:5], 0x10
	s_load_b128 s[4:7], s[4:5], 0x0
	s_wait_kmcnt 0x0
	s_mul_u64 s[18:19], s[18:19], s[2:3]
	v_mad_co_u64_u32 v[1:2], null, s6, v73, 0
	v_mad_co_u64_u32 v[3:4], null, s4, v71, 0
	;; [unrolled: 1-line block ×5, first 2 shown]
	s_delay_alu instid0(VALU_DEP_4)
	v_mad_co_u64_u32 v[14:15], null, s7, v73, v[2:3]
	v_mad_co_u64_u32 v[17:18], null, s4, v68, 0
	;; [unrolled: 1-line block ×5, first 2 shown]
	v_dual_mov_b32 v13, v22 :: v_dual_mov_b32 v2, v14
	v_mad_co_u64_u32 v[25:26], null, s5, v72, v[6:7]
	v_mov_b32_e32 v11, v18
	v_mad_co_u64_u32 v[26:27], null, s5, v70, v[8:9]
	v_mov_b32_e32 v12, v20
	s_mul_u64 s[20:21], s[8:9], s[6:7]
	s_lshl_b64 s[18:19], s[18:19], 4
	v_mov_b32_e32 v4, v15
	v_lshlrev_b64_e32 v[1:2], 4, v[1:2]
	v_mad_co_u64_u32 v[27:28], null, s5, v69, v[10:11]
	s_lshl_b64 s[20:21], s[20:21], 4
	s_add_nc_u64 s[10:11], s[10:11], s[18:19]
	v_mov_b32_e32 v6, v25
	s_wait_alu 0xfffe
	s_add_nc_u64 s[10:11], s[10:11], s[20:21]
	v_lshlrev_b64_e32 v[3:4], 4, v[3:4]
	v_mov_b32_e32 v8, v26
	s_wait_alu 0xfffe
	v_add_co_u32 v34, vcc_lo, s10, v1
	v_lshlrev_b64_e32 v[5:6], 4, v[5:6]
	v_add_co_ci_u32_e32 v35, vcc_lo, s11, v2, vcc_lo
	v_mov_b32_e32 v10, v27
	v_lshlrev_b64_e32 v[7:8], 4, v[7:8]
	v_add_co_u32 v3, vcc_lo, v34, v3
	s_wait_alu 0xfffd
	v_add_co_ci_u32_e32 v4, vcc_lo, v35, v4, vcc_lo
	v_lshlrev_b64_e32 v[1:2], 4, v[9:10]
	v_add_co_u32 v5, vcc_lo, v34, v5
	s_wait_alu 0xfffd
	v_add_co_ci_u32_e32 v6, vcc_lo, v35, v6, vcc_lo
	v_add_co_u32 v9, vcc_lo, v34, v7
	s_wait_alu 0xfffd
	v_add_co_ci_u32_e32 v10, vcc_lo, v35, v8, vcc_lo
	v_mad_co_u64_u32 v[28:29], null, s5, v68, v[11:12]
	v_add_co_u32 v14, vcc_lo, v34, v1
	v_mad_co_u64_u32 v[29:30], null, s5, v67, v[12:13]
	v_mad_co_u64_u32 v[23:24], null, s4, v66, 0
	s_delay_alu instid0(VALU_DEP_3)
	v_mad_co_u64_u32 v[25:26], null, s5, v65, v[13:14]
	v_mad_co_u64_u32 v[26:27], null, s4, v64, 0
	v_mov_b32_e32 v18, v28
	v_mov_b32_e32 v20, v29
	s_wait_alu 0xfffd
	v_add_co_ci_u32_e32 v15, vcc_lo, v35, v2, vcc_lo
	v_mov_b32_e32 v22, v25
	v_lshlrev_b64_e32 v[17:18], 4, v[17:18]
	v_mad_co_u64_u32 v[24:25], null, s5, v66, v[24:25]
	v_mov_b32_e32 v25, v27
	v_lshlrev_b64_e32 v[19:20], 4, v[19:20]
	v_lshlrev_b64_e32 v[21:22], 4, v[21:22]
	v_add_co_u32 v17, vcc_lo, v34, v17
	s_delay_alu instid0(VALU_DEP_4)
	v_mad_co_u64_u32 v[27:28], null, s5, v64, v[25:26]
	s_wait_alu 0xfffd
	v_add_co_ci_u32_e32 v18, vcc_lo, v35, v18, vcc_lo
	v_add_co_u32 v28, vcc_lo, v34, v19
	s_wait_alu 0xfffd
	v_add_co_ci_u32_e32 v29, vcc_lo, v35, v20, vcc_lo
	v_lshlrev_b64_e32 v[19:20], 4, v[23:24]
	v_add_co_u32 v30, vcc_lo, v34, v21
	s_wait_alu 0xfffd
	v_add_co_ci_u32_e32 v31, vcc_lo, v35, v22, vcc_lo
	v_lshlrev_b64_e32 v[21:22], 4, v[26:27]
	s_delay_alu instid0(VALU_DEP_4)
	v_add_co_u32 v32, vcc_lo, v34, v19
	s_wait_alu 0xfffd
	v_add_co_ci_u32_e32 v33, vcc_lo, v35, v20, vcc_lo
	s_clause 0x1
	global_load_b128 v[1:4], v[3:4], off
	global_load_b128 v[5:8], v[5:6], off
	v_add_co_u32 v34, vcc_lo, v34, v21
	s_wait_alu 0xfffd
	v_add_co_ci_u32_e32 v35, vcc_lo, v35, v22, vcc_lo
	s_clause 0x6
	global_load_b128 v[9:12], v[9:10], off
	global_load_b128 v[13:16], v[14:15], off
	global_load_b128 v[17:20], v[17:18], off
	global_load_b128 v[21:24], v[28:29], off
	global_load_b128 v[25:28], v[30:31], off
	global_load_b128 v[29:32], v[32:33], off
	global_load_b128 v[33:36], v[34:35], off
	s_wait_loadcnt 0x8
	ds_store_b128 v37, v[1:4]
	s_wait_loadcnt 0x7
	ds_store_b128 v37, v[5:8] offset:144
	s_wait_loadcnt 0x6
	ds_store_b128 v37, v[9:12] offset:288
	;; [unrolled: 2-line block ×8, first 2 shown]
.LBB0_4:
	s_or_b32 exec_lo, exec_lo, s14
	s_mov_b32 s4, 0
	s_mov_b32 s6, 0x30c26c00
	;; [unrolled: 1-line block ×3, first 2 shown]
	s_wait_alu 0xfffe
	s_mov_b32 s5, s4
	s_movk_i32 s10, 0xffeb
	s_wait_alu 0xfffe
	s_add_nc_u64 s[6:7], s[4:5], s[6:7]
	s_mov_b32 s11, -1
	s_wait_alu 0xfffe
	s_add_co_i32 s7, s7, 0xc30c2e0
	v_and_b32_e32 v1, 0xffff, v0
	s_wait_alu 0xfffe
	s_mul_u64 s[10:11], s[6:7], s[10:11]
	s_mov_b32 s19, s4
	s_wait_alu 0xfffe
	s_mul_hi_u32 s15, s6, s11
	s_mul_i32 s14, s6, s11
	s_mul_hi_u32 s18, s6, s10
	v_mul_u32_u24_e32 v1, 0x1c72, v1
	s_mul_hi_u32 s5, s7, s10
	s_mul_i32 s10, s7, s10
	s_add_nc_u64 s[14:15], s[18:19], s[14:15]
	s_mul_hi_u32 s18, s7, s11
	s_wait_alu 0xfffe
	s_add_co_u32 s10, s14, s10
	s_add_co_ci_u32 s10, s15, s5
	s_add_co_ci_u32 s15, s18, 0
	s_mul_i32 s14, s7, s11
	s_mov_b32 s11, s4
	v_lshrrev_b32_e32 v5, 16, v1
	s_wait_alu 0xfffe
	s_add_nc_u64 s[4:5], s[10:11], s[14:15]
	s_mov_b32 s15, 0xbfebb67a
	s_wait_alu 0xfffe
	v_add_co_u32 v3, s4, s6, s4
	s_delay_alu instid0(VALU_DEP_1) | instskip(SKIP_4) | instid1(VALU_DEP_2)
	s_cmp_lg_u32 s4, 0
	v_add_co_u32 v77, s4, s8, v5
	s_add_co_ci_u32 s5, s7, s5
	v_add_co_ci_u32_e64 v6, null, s9, 0, s4
	s_wait_alu 0xfffe
	v_mad_co_u64_u32 v[1:2], null, v77, s5, 0
	v_mul_hi_u32 v7, v77, v3
	s_delay_alu instid0(VALU_DEP_3)
	v_mad_co_u64_u32 v[3:4], null, v6, v3, 0
	v_mul_lo_u16 v5, v5, 9
	s_mov_b32 s18, 0x8c811c17
	s_mov_b32 s24, 0xa2cf5039
	;; [unrolled: 1-line block ×4, first 2 shown]
	s_delay_alu instid0(VALU_DEP_3) | instskip(SKIP_3) | instid1(VALU_DEP_3)
	v_add_co_u32 v7, vcc_lo, v7, v1
	s_wait_alu 0xfffd
	v_add_co_ci_u32_e32 v8, vcc_lo, 0, v2, vcc_lo
	v_mad_co_u64_u32 v[1:2], null, v6, s5, 0
	v_add_co_u32 v3, vcc_lo, v7, v3
	s_wait_alu 0xfffd
	s_delay_alu instid0(VALU_DEP_3)
	v_add_co_ci_u32_e32 v3, vcc_lo, v8, v4, vcc_lo
	v_sub_nc_u16 v63, v0, v5
	s_clause 0x1
	s_load_b64 s[10:11], s[12:13], 0x0
	s_load_b128 s[4:7], s[12:13], 0x8
	v_add_co_ci_u32_e32 v2, vcc_lo, 0, v2, vcc_lo
	v_add_co_u32 v1, vcc_lo, v3, v1
	v_and_b32_e32 v78, 0xffff, v63
	s_wait_alu 0xfffd
	s_delay_alu instid0(VALU_DEP_3) | instskip(NEXT) | instid1(VALU_DEP_3)
	v_add_co_ci_u32_e32 v3, vcc_lo, 0, v2, vcc_lo
	v_mad_co_u64_u32 v[1:2], null, v1, 21, 0
	global_wb scope:SCOPE_SE
	s_wait_dscnt 0x0
	s_wait_kmcnt 0x0
	s_barrier_signal -1
	s_barrier_wait -1
	global_inv scope:SCOPE_SE
	s_mov_b32 s12, 0xe8584caa
	s_mov_b32 s13, 0x3febb67a
	v_mad_co_u64_u32 v[2:3], null, v3, 21, v[2:3]
	v_sub_co_u32 v1, vcc_lo, v77, v1
	s_mov_b32 s14, s12
	s_mov_b32 s19, 0x3fef838b
	;; [unrolled: 1-line block ×4, first 2 shown]
	s_wait_alu 0xfffd
	s_delay_alu instid0(VALU_DEP_2) | instskip(SKIP_3) | instid1(VALU_DEP_2)
	v_sub_co_ci_u32_e32 v2, vcc_lo, v6, v2, vcc_lo
	v_sub_co_u32 v3, vcc_lo, v1, 21
	s_mov_b32 s27, 0xbfee11f6
	s_wait_alu 0xfffd
	v_subrev_co_ci_u32_e32 v4, vcc_lo, 0, v2, vcc_lo
	s_delay_alu instid0(VALU_DEP_2)
	v_cmp_lt_u32_e32 vcc_lo, 20, v3
	v_lshlrev_b32_e32 v29, 4, v78
	s_wait_alu 0xfffd
	v_cndmask_b32_e64 v6, 0, -1, vcc_lo
	v_cmp_lt_u32_e32 vcc_lo, 20, v1
	s_wait_alu 0xfffd
	v_cndmask_b32_e64 v7, 0, -1, vcc_lo
	v_cmp_eq_u32_e32 vcc_lo, 0, v4
	s_wait_alu 0xfffd
	v_cndmask_b32_e32 v4, -1, v6, vcc_lo
	v_cmp_eq_u32_e32 vcc_lo, 0, v2
	v_subrev_nc_u32_e32 v6, 21, v3
	s_wait_alu 0xfffd
	v_cndmask_b32_e32 v2, -1, v7, vcc_lo
	v_cmp_ne_u32_e32 vcc_lo, 0, v4
	s_wait_alu 0xfffd
	v_cndmask_b32_e32 v3, v3, v6, vcc_lo
	s_delay_alu instid0(VALU_DEP_3) | instskip(SKIP_1) | instid1(VALU_DEP_2)
	v_cmp_ne_u32_e32 vcc_lo, 0, v2
	s_wait_alu 0xfffd
	v_cndmask_b32_e32 v0, v1, v3, vcc_lo
	s_delay_alu instid0(VALU_DEP_1) | instskip(NEXT) | instid1(VALU_DEP_1)
	v_mul_u32_u24_e32 v0, 0x51, v0
	v_lshlrev_b32_e32 v0, 4, v0
	s_delay_alu instid0(VALU_DEP_1)
	v_add3_u32 v76, 0, v29, v0
	ds_load_b128 v[1:4], v76 offset:432
	ds_load_b128 v[5:8], v76 offset:864
	;; [unrolled: 1-line block ×7, first 2 shown]
	v_add3_u32 v79, 0, v0, v29
	ds_load_b128 v[29:32], v79
	ds_load_b128 v[33:36], v76 offset:144
	global_wb scope:SCOPE_SE
	s_wait_dscnt 0x0
	s_barrier_signal -1
	s_barrier_wait -1
	global_inv scope:SCOPE_SE
	v_add_f64_e32 v[37:38], v[1:2], v[5:6]
	v_add_f64_e32 v[39:40], v[3:4], v[7:8]
	;; [unrolled: 1-line block ×8, first 2 shown]
	v_add_f64_e64 v[51:52], v[3:4], -v[7:8]
	v_add_f64_e32 v[49:50], v[29:30], v[1:2]
	v_add_f64_e32 v[53:54], v[31:32], v[3:4]
	;; [unrolled: 1-line block ×4, first 2 shown]
	v_add_f64_e64 v[1:2], v[1:2], -v[5:6]
	v_and_b32_e32 v3, 0xff, v63
	s_delay_alu instid0(VALU_DEP_1)
	v_mul_lo_u16 v3, 0xab, v3
	v_fma_f64 v[29:30], v[37:38], -0.5, v[29:30]
	v_fma_f64 v[31:32], v[39:40], -0.5, v[31:32]
	v_add_f64_e64 v[37:38], v[15:16], -v[11:12]
	v_fma_f64 v[33:34], v[41:42], -0.5, v[33:34]
	v_add_f64_e64 v[39:40], v[13:14], -v[9:10]
	;; [unrolled: 2-line block ×4, first 2 shown]
	v_fma_f64 v[47:48], v[47:48], -0.5, v[27:28]
	v_add_f64_e32 v[4:5], v[49:50], v[5:6]
	v_add_f64_e32 v[6:7], v[53:54], v[7:8]
	v_add_f64_e32 v[8:9], v[55:56], v[9:10]
	v_add_f64_e32 v[10:11], v[57:58], v[11:12]
	v_add_f64_e32 v[12:13], v[59:60], v[21:22]
	v_add_f64_e32 v[14:15], v[61:62], v[23:24]
	v_fma_f64 v[16:17], v[51:52], s[12:13], v[29:30]
	v_fma_f64 v[18:19], v[1:2], s[14:15], v[31:32]
	;; [unrolled: 1-line block ×12, first 2 shown]
	v_lshrrev_b16 v2, 9, v3
	s_delay_alu instid0(VALU_DEP_1) | instskip(SKIP_1) | instid1(VALU_DEP_2)
	v_mul_lo_u16 v1, v2, 3
	v_and_b32_e32 v2, 0xffff, v2
	v_sub_nc_u16 v1, v63, v1
	s_delay_alu instid0(VALU_DEP_2) | instskip(NEXT) | instid1(VALU_DEP_2)
	v_mad_u32_u24 v2, 0x1b0, v2, 0
	v_and_b32_e32 v3, 0xff, v1
	v_lshlrev_b32_e32 v1, 5, v78
	s_delay_alu instid0(VALU_DEP_2) | instskip(NEXT) | instid1(VALU_DEP_2)
	v_lshlrev_b32_e32 v40, 7, v3
	v_add_nc_u32_e32 v41, v76, v1
	ds_store_b128 v41, v[12:15] offset:864
	ds_store_b128 v41, v[4:7]
	ds_store_b128 v41, v[16:19] offset:16
	ds_store_b128 v41, v[8:11] offset:432
	;; [unrolled: 1-line block ×5, first 2 shown]
	ds_store_2addr_b64 v41, v[32:33], v[36:37] offset0:110 offset1:111
	ds_store_2addr_b64 v41, v[34:35], v[38:39] offset0:112 offset1:113
	global_wb scope:SCOPE_SE
	s_wait_dscnt 0x0
	s_barrier_signal -1
	s_barrier_wait -1
	global_inv scope:SCOPE_SE
	s_clause 0x7
	global_load_b128 v[4:7], v40, s[16:17]
	global_load_b128 v[8:11], v40, s[16:17] offset:112
	global_load_b128 v[12:15], v40, s[16:17] offset:48
	;; [unrolled: 1-line block ×7, first 2 shown]
	ds_load_b128 v[36:39], v76 offset:144
	ds_load_b128 v[40:43], v76 offset:1152
	;; [unrolled: 1-line block ×8, first 2 shown]
	ds_load_b128 v[84:87], v79
	v_lshlrev_b32_e32 v3, 4, v3
	global_wb scope:SCOPE_SE
	s_wait_loadcnt_dscnt 0x0
	s_barrier_signal -1
	s_barrier_wait -1
	global_inv scope:SCOPE_SE
	v_add3_u32 v0, v2, v3, v0
	v_mul_f64_e32 v[88:89], v[38:39], v[6:7]
	v_mul_f64_e32 v[6:7], v[36:37], v[6:7]
	;; [unrolled: 1-line block ×12, first 2 shown]
	v_fma_f64 v[36:37], v[36:37], v[4:5], -v[88:89]
	v_fma_f64 v[4:5], v[38:39], v[4:5], v[6:7]
	v_fma_f64 v[6:7], v[40:41], v[8:9], -v[90:91]
	v_fma_f64 v[8:9], v[42:43], v[8:9], v[10:11]
	v_fma_f64 v[10:11], v[46:47], v[12:13], v[92:93]
	;; [unrolled: 1-line block ×3, first 2 shown]
	v_fma_f64 v[12:13], v[44:45], v[12:13], -v[14:15]
	v_fma_f64 v[14:15], v[48:49], v[16:17], -v[18:19]
	;; [unrolled: 1-line block ×4, first 2 shown]
	v_fma_f64 v[20:21], v[54:55], v[20:21], v[22:23]
	v_fma_f64 v[22:23], v[58:59], v[24:25], v[26:27]
	v_mul_f64_e32 v[24:25], v[62:63], v[30:31]
	v_mul_f64_e32 v[26:27], v[60:61], v[30:31]
	;; [unrolled: 1-line block ×4, first 2 shown]
	v_add_f64_e64 v[40:41], v[36:37], -v[6:7]
	v_add_f64_e64 v[42:43], v[4:5], -v[8:9]
	v_add_f64_e32 v[6:7], v[36:37], v[6:7]
	v_add_f64_e32 v[4:5], v[4:5], v[8:9]
	v_add_f64_e64 v[44:45], v[10:11], -v[38:39]
	v_add_f64_e32 v[8:9], v[12:13], v[14:15]
	v_add_f64_e64 v[36:37], v[12:13], -v[14:15]
	v_add_f64_e32 v[46:47], v[16:17], v[18:19]
	v_add_f64_e32 v[50:51], v[10:11], v[38:39]
	;; [unrolled: 1-line block ×3, first 2 shown]
	v_fma_f64 v[24:25], v[60:61], v[28:29], -v[24:25]
	v_fma_f64 v[26:27], v[62:63], v[28:29], v[26:27]
	v_fma_f64 v[28:29], v[80:81], v[32:33], -v[30:31]
	v_fma_f64 v[30:31], v[82:83], v[32:33], v[34:35]
	v_add_f64_e64 v[20:21], v[20:21], -v[22:23]
	v_add_f64_e64 v[16:17], v[16:17], -v[18:19]
	v_mul_f64_e32 v[18:19], s[20:21], v[40:41]
	v_mul_f64_e32 v[22:23], s[20:21], v[42:43]
	v_fma_f64 v[32:33], v[6:7], s[24:25], v[84:85]
	v_fma_f64 v[34:35], v[4:5], s[24:25], v[86:87]
	v_mul_f64_e32 v[56:57], s[18:19], v[44:45]
	v_fma_f64 v[52:53], v[8:9], s[24:25], v[84:85]
	v_mul_f64_e32 v[54:55], s[18:19], v[36:37]
	v_fma_f64 v[58:59], v[46:47], s[24:25], v[84:85]
	s_mov_b32 s21, 0xbfe491b7
	v_fma_f64 v[60:61], v[48:49], s[24:25], v[86:87]
	v_fma_f64 v[62:63], v[50:51], s[24:25], v[86:87]
	s_wait_alu 0xfffe
	v_mul_f64_e32 v[80:81], s[20:21], v[44:45]
	v_mul_f64_e32 v[82:83], s[20:21], v[36:37]
	v_add_f64_e32 v[88:89], v[24:25], v[28:29]
	v_add_f64_e32 v[90:91], v[26:27], v[30:31]
	;; [unrolled: 1-line block ×4, first 2 shown]
	s_mov_b32 s24, 0x7e0b738b
	s_mov_b32 s25, 0x3fc63a1a
	v_add_f64_e64 v[26:27], v[26:27], -v[30:31]
	v_add_f64_e64 v[24:25], v[24:25], -v[28:29]
	v_fma_f64 v[18:19], v[16:17], s[18:19], v[18:19]
	v_fma_f64 v[22:23], v[20:21], s[18:19], v[22:23]
	s_wait_alu 0xfffe
	v_fma_f64 v[28:29], v[46:47], s[24:25], v[32:33]
	v_fma_f64 v[30:31], v[48:49], s[24:25], v[34:35]
	;; [unrolled: 1-line block ×3, first 2 shown]
	v_fma_f64 v[34:35], v[16:17], s[20:21], -v[54:55]
	v_fma_f64 v[52:53], v[20:21], s[20:21], -v[56:57]
	v_fma_f64 v[54:55], v[8:9], s[24:25], v[58:59]
	v_fma_f64 v[56:57], v[50:51], s[24:25], v[60:61]
	;; [unrolled: 1-line block ×5, first 2 shown]
	s_mov_b32 s18, 0xe8584cab
	s_mov_b32 s19, s13
	v_add_f64_e32 v[100:101], v[8:9], v[92:93]
	v_add_f64_e32 v[102:103], v[50:51], v[94:95]
	v_add_f64_e32 v[92:93], v[88:89], v[92:93]
	v_add_f64_e32 v[94:95], v[90:91], v[94:95]
	s_wait_alu 0xfffe
	s_mov_b32 s20, s18
	s_mov_b32 s21, s15
	v_add_f64_e32 v[80:81], v[36:37], v[40:41]
	v_add_f64_e32 v[82:83], v[44:45], v[42:43]
	;; [unrolled: 1-line block ×4, first 2 shown]
	s_mov_b32 s24, 0x748a0bf8
	s_mov_b32 s25, 0x3fd5e3a8
	v_fma_f64 v[18:19], v[24:25], s[18:19], v[18:19]
	v_fma_f64 v[22:23], v[26:27], s[18:19], v[22:23]
	v_fma_f64 v[28:29], v[88:89], -0.5, v[28:29]
	v_fma_f64 v[30:31], v[90:91], -0.5, v[30:31]
	;; [unrolled: 1-line block ×3, first 2 shown]
	v_fma_f64 v[34:35], v[24:25], s[18:19], v[34:35]
	v_fma_f64 v[52:53], v[26:27], s[18:19], v[52:53]
	v_fma_f64 v[54:55], v[88:89], -0.5, v[54:55]
	v_fma_f64 v[56:57], v[90:91], -0.5, v[56:57]
	;; [unrolled: 1-line block ×3, first 2 shown]
	s_wait_alu 0xfffe
	v_fma_f64 v[26:27], v[26:27], s[20:21], v[60:61]
	v_fma_f64 v[24:25], v[24:25], s[20:21], v[62:63]
	v_add_f64_e32 v[12:13], v[12:13], v[92:93]
	v_add_f64_e32 v[10:11], v[10:11], v[94:95]
	v_add_f64_e64 v[60:61], v[80:81], -v[16:17]
	v_add_f64_e64 v[62:63], v[82:83], -v[20:21]
	v_fma_f64 v[80:81], v[100:101], -0.5, v[96:97]
	v_fma_f64 v[82:83], v[102:103], -0.5, v[98:99]
	v_fma_f64 v[36:37], v[36:37], s[24:25], v[18:19]
	v_fma_f64 v[44:45], v[44:45], s[24:25], v[22:23]
	;; [unrolled: 1-line block ×12, first 2 shown]
	v_add_nc_u32_e32 v48, 9, v78
	v_add_nc_u32_e32 v56, 36, v78
	v_add_f64_e32 v[20:21], v[14:15], v[12:13]
	v_add_f64_e32 v[38:39], v[38:39], v[10:11]
	v_mul_f64_e32 v[26:27], s[18:19], v[60:61]
	v_mul_f64_e32 v[24:25], s[18:19], v[62:63]
	v_fma_f64 v[4:5], v[62:63], s[18:19], v[80:81]
	v_fma_f64 v[6:7], v[60:61], s[20:21], v[82:83]
	s_load_b64 s[18:19], s[0:1], 0x8
	v_mul_lo_u32 v80, v77, v78
	v_mul_lo_u32 v83, v77, v48
	s_delay_alu instid0(VALU_DEP_1) | instskip(SKIP_2) | instid1(VALU_DEP_3)
	v_lshrrev_b32_e32 v49, 4, v83
	v_add_f64_e32 v[8:9], v[44:45], v[8:9]
	v_add_f64_e64 v[10:11], v[18:19], -v[36:37]
	v_and_b32_e32 v52, 0xff0, v49
	v_add_f64_e32 v[12:13], v[32:33], v[28:29]
	v_add_f64_e64 v[14:15], v[34:35], -v[30:31]
	v_add_f64_e32 v[16:17], v[42:43], v[22:23]
	v_add_f64_e64 v[18:19], v[40:41], -v[46:47]
	v_add_f64_e32 v[20:21], v[84:85], v[20:21]
	v_add_f64_e32 v[22:23], v[86:87], v[38:39]
	v_add_nc_u32_e32 v85, 18, v78
	v_mul_lo_u32 v84, v77, v56
	v_add_nc_u32_e32 v86, 63, v78
	v_fma_f64 v[24:25], v[24:25], -2.0, v[4:5]
	v_fma_f64 v[26:27], v[26:27], 2.0, v[6:7]
	s_delay_alu instid0(VALU_DEP_3) | instskip(SKIP_2) | instid1(VALU_DEP_2)
	v_mul_lo_u32 v136, v77, v86
	v_and_b32_e32 v56, 0xff, v84
	v_lshrrev_b32_e32 v57, 4, v84
	v_lshlrev_b32_e32 v56, 4, v56
	s_delay_alu instid0(VALU_DEP_2) | instskip(SKIP_3) | instid1(VALU_DEP_3)
	v_and_b32_e32 v60, 0xff0, v57
	v_and_b32_e32 v86, 0xff, v136
	v_lshrrev_b32_e32 v87, 4, v136
	v_fma_f64 v[28:29], v[44:45], -2.0, v[8:9]
	v_lshlrev_b32_e32 v86, 4, v86
	s_delay_alu instid0(VALU_DEP_3)
	v_and_b32_e32 v90, 0xff0, v87
	v_fma_f64 v[32:33], v[32:33], -2.0, v[12:13]
	v_fma_f64 v[34:35], v[30:31], 2.0, v[14:15]
	v_fma_f64 v[30:31], v[36:37], 2.0, v[10:11]
	v_fma_f64 v[36:37], v[42:43], -2.0, v[16:17]
	v_fma_f64 v[38:39], v[46:47], 2.0, v[18:19]
	ds_store_b128 v0, v[20:23]
	ds_store_b128 v0, v[8:11] offset:48
	ds_store_b128 v0, v[4:7] offset:144
	;; [unrolled: 1-line block ×8, first 2 shown]
	global_wb scope:SCOPE_SE
	s_wait_dscnt 0x0
	s_wait_kmcnt 0x0
	s_barrier_signal -1
	s_barrier_wait -1
	global_inv scope:SCOPE_SE
	s_clause 0x1
	global_load_b128 v[4:7], v1, s[16:17] offset:384
	global_load_b128 v[0:3], v1, s[16:17] offset:400
	v_lshlrev_b32_e32 v8, 5, v48
	s_clause 0x1
	global_load_b128 v[12:15], v8, s[16:17] offset:384
	global_load_b128 v[8:11], v8, s[16:17] offset:400
	v_lshlrev_b32_e32 v20, 5, v85
	v_and_b32_e32 v24, 0xff, v80
	v_lshrrev_b32_e32 v25, 4, v80
	v_add_nc_u32_e32 v32, 27, v78
	v_add_nc_u32_e32 v33, 54, v78
	s_clause 0x1
	global_load_b128 v[16:19], v20, s[16:17] offset:384
	global_load_b128 v[20:23], v20, s[16:17] offset:400
	v_lshlrev_b32_e32 v24, 4, v24
	v_and_b32_e32 v28, 0xff0, v25
	s_clause 0x1
	global_load_b128 v[24:27], v24, s[18:19]
	global_load_b128 v[28:31], v28, s[18:19] offset:4096
	v_mul_lo_u32 v82, v77, v32
	v_mul_lo_u32 v81, v77, v33
	v_and_b32_e32 v48, 0xff, v83
	v_mul_lo_u32 v85, v77, v85
	s_delay_alu instid0(VALU_DEP_2)
	v_lshlrev_b32_e32 v48, 4, v48
	v_and_b32_e32 v32, 0xff, v82
	v_lshrrev_b32_e32 v33, 4, v82
	v_and_b32_e32 v34, 0xff, v81
	v_lshrrev_b32_e32 v35, 4, v81
	v_and_b32_e32 v98, 0xff, v85
	v_lshlrev_b32_e32 v32, 4, v32
	v_and_b32_e32 v33, 0xff0, v33
	v_lshlrev_b32_e32 v34, 4, v34
	v_and_b32_e32 v36, 0xff0, v35
	s_clause 0x9
	global_load_b128 v[40:43], v32, s[18:19]
	global_load_b128 v[44:47], v33, s[18:19] offset:4096
	global_load_b128 v[32:35], v34, s[18:19]
	global_load_b128 v[36:39], v36, s[18:19] offset:4096
	;; [unrolled: 2-line block ×5, first 2 shown]
	v_lshrrev_b32_e32 v99, 4, v85
	v_lshlrev_b32_e32 v106, 4, v98
	ds_load_b128 v[94:97], v76 offset:432
	v_and_b32_e32 v110, 0xff0, v99
	ds_load_b128 v[98:101], v76 offset:864
	ds_load_b128 v[102:105], v76 offset:288
	s_clause 0x1
	global_load_b128 v[106:109], v106, s[18:19]
	global_load_b128 v[110:113], v110, s[18:19] offset:4096
	ds_load_b128 v[114:117], v76 offset:1008
	s_wait_loadcnt_dscnt 0x1303
	v_mul_f64_e32 v[118:119], v[96:97], v[6:7]
	v_mul_f64_e32 v[6:7], v[94:95], v[6:7]
	s_wait_loadcnt_dscnt 0x1202
	v_mul_f64_e32 v[120:121], v[100:101], v[2:3]
	v_mul_f64_e32 v[122:123], v[98:99], v[2:3]
	s_delay_alu instid0(VALU_DEP_4) | instskip(NEXT) | instid1(VALU_DEP_4)
	v_fma_f64 v[118:119], v[94:95], v[4:5], -v[118:119]
	v_fma_f64 v[124:125], v[96:97], v[4:5], v[6:7]
	ds_load_b128 v[2:5], v76 offset:576
	ds_load_b128 v[94:97], v76 offset:720
	v_fma_f64 v[98:99], v[98:99], v[0:1], -v[120:121]
	v_fma_f64 v[100:101], v[100:101], v[0:1], v[122:123]
	s_wait_loadcnt_dscnt 0x1101
	v_mul_f64_e32 v[0:1], v[4:5], v[14:15]
	v_mul_f64_e32 v[6:7], v[2:3], v[14:15]
	s_wait_loadcnt 0x10
	v_mul_f64_e32 v[14:15], v[116:117], v[10:11]
	v_mul_f64_e32 v[10:11], v[114:115], v[10:11]
	s_delay_alu instid0(VALU_DEP_4)
	v_fma_f64 v[120:121], v[2:3], v[12:13], -v[0:1]
	ds_load_b128 v[0:3], v76 offset:1152
	v_fma_f64 v[122:123], v[4:5], v[12:13], v[6:7]
	s_wait_loadcnt_dscnt 0xf01
	v_mul_f64_e32 v[4:5], v[96:97], v[18:19]
	v_mul_f64_e32 v[6:7], v[94:95], v[18:19]
	v_fma_f64 v[114:115], v[114:115], v[8:9], -v[14:15]
	v_fma_f64 v[116:117], v[116:117], v[8:9], v[10:11]
	v_add_nc_u32_e32 v8, 45, v78
	s_wait_loadcnt 0xc
	v_mul_f64_e32 v[18:19], v[26:27], v[30:31]
	v_lshrrev_b32_e32 v9, 12, v82
	s_delay_alu instid0(VALU_DEP_3) | instskip(SKIP_1) | instid1(VALU_DEP_3)
	v_mul_lo_u32 v137, v77, v8
	v_lshrrev_b32_e32 v8, 12, v80
	v_and_b32_e32 v9, 0xff0, v9
	s_delay_alu instid0(VALU_DEP_2)
	v_and_b32_e32 v8, 0xff0, v8
	s_wait_dscnt 0x0
	v_mul_f64_e32 v[12:13], v[2:3], v[22:23]
	v_mul_f64_e32 v[14:15], v[0:1], v[22:23]
	v_mul_f64_e32 v[22:23], v[24:25], v[30:31]
	v_and_b32_e32 v30, 0xff, v137
	v_lshrrev_b32_e32 v31, 4, v137
	v_fma_f64 v[94:95], v[94:95], v[16:17], -v[4:5]
	v_fma_f64 v[96:97], v[96:97], v[16:17], v[6:7]
	s_clause 0x1
	global_load_b128 v[4:7], v8, s[18:19] offset:8192
	global_load_b128 v[8:11], v9, s[18:19] offset:8192
	s_wait_loadcnt 0xc
	v_mul_f64_e32 v[16:17], v[42:43], v[46:47]
	v_fma_f64 v[130:131], v[24:25], v[28:29], -v[18:19]
	v_add_nc_u32_e32 v18, 0x48, v78
	s_delay_alu instid0(VALU_DEP_1)
	v_mul_lo_u32 v138, v77, v18
	v_fma_f64 v[126:127], v[0:1], v[20:21], -v[12:13]
	v_lshlrev_b32_e32 v0, 4, v30
	v_and_b32_e32 v12, 0xff0, v31
	v_fma_f64 v[128:129], v[2:3], v[20:21], v[14:15]
	s_clause 0x1
	global_load_b128 v[0:3], v0, s[18:19]
	global_load_b128 v[12:15], v12, s[18:19] offset:4096
	v_mul_f64_e32 v[20:21], v[40:41], v[46:47]
	s_wait_loadcnt 0xc
	v_mul_f64_e32 v[30:31], v[34:35], v[38:39]
	v_mul_f64_e32 v[38:39], v[32:33], v[38:39]
	v_and_b32_e32 v18, 0xff, v138
	v_lshrrev_b32_e32 v19, 4, v138
	v_fma_f64 v[132:133], v[26:27], v[28:29], v[22:23]
	v_lshrrev_b32_e32 v22, 12, v81
	v_lshrrev_b32_e32 v23, 12, v83
	v_lshlrev_b32_e32 v18, 4, v18
	v_and_b32_e32 v24, 0xff0, v19
	s_delay_alu instid0(VALU_DEP_4) | instskip(NEXT) | instid1(VALU_DEP_4)
	v_and_b32_e32 v25, 0xff0, v22
	v_and_b32_e32 v28, 0xff0, v23
	v_fma_f64 v[77:78], v[40:41], v[44:45], -v[16:17]
	v_fma_f64 v[80:81], v[42:43], v[44:45], v[20:21]
	s_clause 0x2
	global_load_b128 v[16:19], v18, s[18:19]
	global_load_b128 v[20:23], v24, s[18:19] offset:4096
	global_load_b128 v[24:27], v25, s[18:19] offset:8192
	v_fma_f64 v[82:83], v[32:33], v[36:37], -v[30:31]
	s_wait_loadcnt 0xd
	v_mul_f64_e32 v[32:33], v[50:51], v[54:55]
	v_fma_f64 v[134:135], v[34:35], v[36:37], v[38:39]
	s_wait_loadcnt 0xb
	v_mul_f64_e32 v[36:37], v[58:59], v[62:63]
	v_mul_f64_e32 v[38:39], v[56:57], v[62:63]
	;; [unrolled: 1-line block ×3, first 2 shown]
	s_wait_loadcnt 0x9
	v_mul_f64_e32 v[42:43], v[86:87], v[92:93]
	global_load_b128 v[28:31], v28, s[18:19] offset:8192
	v_fma_f64 v[54:55], v[48:49], v[52:53], -v[32:33]
	v_lshrrev_b32_e32 v33, 12, v136
	v_fma_f64 v[56:57], v[56:57], v[60:61], -v[36:37]
	v_fma_f64 v[58:59], v[58:59], v[60:61], v[38:39]
	v_fma_f64 v[52:53], v[50:51], v[52:53], v[34:35]
	s_wait_loadcnt 0x8
	v_mul_f64_e32 v[48:49], v[108:109], v[112:113]
	v_and_b32_e32 v40, 0xff0, v33
	v_mul_f64_e32 v[50:51], v[106:107], v[112:113]
	v_lshrrev_b32_e32 v32, 12, v84
	v_lshrrev_b32_e32 v84, 12, v138
	v_fma_f64 v[62:63], v[88:89], v[90:91], v[42:43]
	global_load_b128 v[36:39], v40, s[18:19] offset:8192
	v_mul_f64_e32 v[40:41], v[88:89], v[92:93]
	v_and_b32_e32 v32, 0xff0, v32
	v_and_b32_e32 v88, 0xff0, v84
	v_add_f64_e32 v[112:113], v[96:97], v[128:129]
	global_load_b128 v[32:35], v32, s[18:19] offset:8192
	v_fma_f64 v[60:61], v[86:87], v[90:91], -v[40:41]
	v_lshrrev_b32_e32 v40, 12, v85
	v_lshrrev_b32_e32 v41, 12, v137
	v_fma_f64 v[84:85], v[106:107], v[110:111], -v[48:49]
	v_fma_f64 v[86:87], v[108:109], v[110:111], v[50:51]
	v_add_f64_e32 v[106:107], v[122:123], v[116:117]
	v_and_b32_e32 v40, 0xff0, v40
	v_and_b32_e32 v44, 0xff0, v41
	s_clause 0x2
	global_load_b128 v[40:43], v40, s[18:19] offset:8192
	global_load_b128 v[44:47], v44, s[18:19] offset:8192
	;; [unrolled: 1-line block ×3, first 2 shown]
	v_add_f64_e32 v[110:111], v[94:95], v[126:127]
	s_wait_loadcnt 0x9
	v_mul_f64_e32 v[88:89], v[2:3], v[14:15]
	v_mul_f64_e32 v[14:15], v[0:1], v[14:15]
	s_delay_alu instid0(VALU_DEP_2) | instskip(SKIP_3) | instid1(VALU_DEP_4)
	v_fma_f64 v[88:89], v[0:1], v[12:13], -v[88:89]
	s_wait_loadcnt 0x7
	v_mul_f64_e32 v[90:91], v[18:19], v[22:23]
	v_mul_f64_e32 v[0:1], v[16:17], v[22:23]
	v_fma_f64 v[12:13], v[2:3], v[12:13], v[14:15]
	v_mul_f64_e32 v[2:3], v[132:133], v[6:7]
	v_mul_f64_e32 v[6:7], v[130:131], v[6:7]
	;; [unrolled: 1-line block ×4, first 2 shown]
	v_add_f64_e32 v[22:23], v[124:125], v[100:101]
	v_fma_f64 v[16:17], v[16:17], v[20:21], -v[90:91]
	v_fma_f64 v[18:19], v[18:19], v[20:21], v[0:1]
	v_add_f64_e32 v[20:21], v[118:119], v[98:99]
	v_add_f64_e32 v[90:91], v[120:121], v[114:115]
	v_fma_f64 v[92:93], v[4:5], v[130:131], -v[2:3]
	v_fma_f64 v[108:109], v[4:5], v[132:133], v[6:7]
	ds_load_b128 v[0:3], v79
	ds_load_b128 v[4:7], v76 offset:144
	v_fma_f64 v[14:15], v[8:9], v[77:78], -v[14:15]
	v_fma_f64 v[8:9], v[8:9], v[80:81], v[10:11]
	v_add_f64_e32 v[79:80], v[102:103], v[94:95]
	v_add_f64_e64 v[94:95], v[94:95], -v[126:127]
	global_wb scope:SCOPE_SE
	s_wait_loadcnt_dscnt 0x0
	s_barrier_signal -1
	s_barrier_wait -1
	global_inv scope:SCOPE_SE
	v_add_f64_e32 v[10:11], v[0:1], v[118:119]
	v_fma_f64 v[77:78], v[106:107], -0.5, v[6:7]
	v_add_f64_e32 v[6:7], v[6:7], v[122:123]
	v_add_f64_e64 v[106:107], v[118:119], -v[98:99]
	v_add_f64_e64 v[118:119], v[122:123], -v[116:117]
	v_fma_f64 v[0:1], v[20:21], -0.5, v[0:1]
	v_fma_f64 v[20:21], v[22:23], -0.5, v[2:3]
	v_add_f64_e32 v[2:3], v[2:3], v[124:125]
	v_add_f64_e32 v[22:23], v[4:5], v[120:121]
	v_fma_f64 v[4:5], v[90:91], -0.5, v[4:5]
	v_fma_f64 v[90:91], v[110:111], -0.5, v[102:103]
	v_add_f64_e64 v[110:111], v[124:125], -v[100:101]
	v_fma_f64 v[102:103], v[112:113], -0.5, v[104:105]
	v_add_f64_e32 v[104:105], v[104:105], v[96:97]
	v_add_f64_e64 v[112:113], v[120:121], -v[114:115]
	v_add_f64_e64 v[96:97], v[96:97], -v[128:129]
	v_mul_f64_e32 v[120:121], v[82:83], v[26:27]
	v_mul_f64_e32 v[26:27], v[134:135], v[26:27]
	v_add_f64_e32 v[79:80], v[79:80], v[126:127]
	v_add_f64_e32 v[10:11], v[10:11], v[98:99]
	v_mul_f64_e32 v[98:99], v[54:55], v[30:31]
	v_add_f64_e32 v[6:7], v[6:7], v[116:117]
	v_mul_f64_e32 v[116:117], v[84:85], v[42:43]
	v_mul_f64_e32 v[122:123], v[88:89], v[46:47]
	;; [unrolled: 1-line block ×4, first 2 shown]
	v_fma_f64 v[124:125], v[106:107], s[14:15], v[20:21]
	v_add_f64_e32 v[2:3], v[2:3], v[100:101]
	v_mul_f64_e32 v[100:101], v[56:57], v[34:35]
	v_add_f64_e32 v[22:23], v[22:23], v[114:115]
	v_mul_f64_e32 v[114:115], v[60:61], v[38:39]
	v_fma_f64 v[20:21], v[106:107], s[12:13], v[20:21]
	v_fma_f64 v[106:107], v[110:111], s[12:13], v[0:1]
	;; [unrolled: 1-line block ×3, first 2 shown]
	v_mul_f64_e32 v[0:1], v[16:17], v[50:51]
	v_add_f64_e32 v[104:105], v[104:105], v[128:129]
	v_fma_f64 v[128:129], v[94:95], s[14:15], v[102:103]
	v_fma_f64 v[94:95], v[94:95], s[12:13], v[102:103]
	;; [unrolled: 1-line block ×4, first 2 shown]
	v_mul_f64_e32 v[34:35], v[58:59], v[34:35]
	v_mul_f64_e32 v[38:39], v[62:63], v[38:39]
	v_fma_f64 v[126:127], v[112:113], s[14:15], v[77:78]
	v_fma_f64 v[77:78], v[112:113], s[12:13], v[77:78]
	;; [unrolled: 1-line block ×5, first 2 shown]
	v_fma_f64 v[24:25], v[24:25], v[82:83], -v[26:27]
	v_fma_f64 v[96:97], v[28:29], v[52:53], v[98:99]
	v_fma_f64 v[26:27], v[28:29], v[54:55], -v[30:31]
	v_fma_f64 v[52:53], v[32:33], v[58:59], v[100:101]
	v_fma_f64 v[58:59], v[36:37], v[62:63], v[114:115]
	;; [unrolled: 1-line block ×4, first 2 shown]
	v_mul_f64_e32 v[12:13], v[12:13], v[46:47]
	v_fma_f64 v[0:1], v[48:49], v[18:19], v[0:1]
	v_mul_f64_e32 v[18:19], v[18:19], v[50:51]
	v_mul_f64_e32 v[46:47], v[106:107], v[8:9]
	v_fma_f64 v[28:29], v[32:33], v[56:57], -v[34:35]
	v_fma_f64 v[30:31], v[36:37], v[60:61], -v[38:39]
	;; [unrolled: 1-line block ×3, first 2 shown]
	v_mul_f64_e32 v[50:51], v[110:111], v[4:5]
	v_mul_f64_e32 v[38:39], v[22:23], v[96:97]
	;; [unrolled: 1-line block ×7, first 2 shown]
	v_fma_f64 v[34:35], v[44:45], v[88:89], -v[12:13]
	v_mul_f64_e32 v[12:13], v[2:3], v[108:109]
	v_fma_f64 v[36:37], v[48:49], v[16:17], -v[18:19]
	v_mul_f64_e32 v[16:17], v[10:11], v[108:109]
	v_mul_f64_e32 v[18:19], v[6:7], v[96:97]
	;; [unrolled: 1-line block ×9, first 2 shown]
	v_fma_f64 v[6:7], v[6:7], v[26:27], v[38:39]
	v_fma_f64 v[8:9], v[79:80], v[32:33], -v[40:41]
	v_fma_f64 v[0:1], v[10:11], v[92:93], -v[12:13]
	v_fma_f64 v[2:3], v[2:3], v[92:93], v[16:17]
	v_fma_f64 v[4:5], v[22:23], v[26:27], -v[18:19]
	v_fma_f64 v[12:13], v[106:107], v[14:15], -v[44:45]
	v_fma_f64 v[14:15], v[124:125], v[14:15], v[46:47]
	v_fma_f64 v[16:17], v[110:111], v[24:25], -v[48:49]
	v_fma_f64 v[18:19], v[20:21], v[24:25], v[50:51]
	;; [unrolled: 2-line block ×4, first 2 shown]
	v_fma_f64 v[10:11], v[104:105], v[32:33], v[42:43]
	v_fma_f64 v[28:29], v[102:103], v[34:35], -v[60:61]
	v_fma_f64 v[30:31], v[128:129], v[34:35], v[62:63]
	v_fma_f64 v[32:33], v[90:91], v[36:37], -v[81:82]
	v_fma_f64 v[34:35], v[94:95], v[36:37], v[83:84]
	ds_store_b128 v76, v[0:3]
	ds_store_b128 v76, v[4:7] offset:144
	ds_store_b128 v76, v[12:15] offset:432
	ds_store_b128 v76, v[16:19] offset:864
	ds_store_2addr_b64 v76, v[20:21], v[22:23] offset0:72 offset1:73
	ds_store_2addr_b64 v76, v[24:25], v[26:27] offset0:126 offset1:127
	ds_store_b128 v76, v[8:11] offset:288
	ds_store_2addr_b64 v76, v[28:29], v[30:31] offset0:90 offset1:91
	ds_store_2addr_b64 v76, v[32:33], v[34:35] offset0:144 offset1:145
	global_wb scope:SCOPE_SE
	s_wait_dscnt 0x0
	s_barrier_signal -1
	s_barrier_wait -1
	global_inv scope:SCOPE_SE
	s_and_saveexec_b32 s12, s22
	s_cbranch_execz .LBB0_6
; %bb.5:
	v_mad_co_u64_u32 v[4:5], null, s4, v73, 0
	v_mad_co_u64_u32 v[6:7], null, s10, v71, 0
	;; [unrolled: 1-line block ×3, first 2 shown]
	s_load_b64 s[0:1], s[0:1], 0x60
                                        ; kill: def $vgpr1 killed $sgpr0 killed $exec
	v_add3_u32 v25, 0, v75, v74
	s_delay_alu instid0(VALU_DEP_4)
	v_mov_b32_e32 v0, v5
	s_mul_u64 s[2:3], s[6:7], s[2:3]
	s_mul_u64 s[8:9], s[4:5], s[8:9]
	s_wait_alu 0xfffe
	s_lshl_b64 s[2:3], s[2:3], 4
	v_mad_co_u64_u32 v[10:11], null, s10, v70, 0
	v_mad_co_u64_u32 v[0:1], null, s5, v73, v[0:1]
	v_mov_b32_e32 v1, v7
	v_mov_b32_e32 v7, v9
	s_lshl_b64 s[4:5], s[8:9], 4
	s_delay_alu instid0(VALU_DEP_2) | instskip(NEXT) | instid1(VALU_DEP_2)
	v_mad_co_u64_u32 v[12:13], null, s11, v71, v[1:2]
	v_mad_co_u64_u32 v[13:14], null, s11, v72, v[7:8]
	s_wait_kmcnt 0x0
	s_wait_alu 0xfffe
	s_add_nc_u64 s[0:1], s[0:1], s[2:3]
	s_delay_alu instid0(SALU_CYCLE_1) | instskip(NEXT) | instid1(VALU_DEP_2)
	s_add_nc_u64 s[0:1], s[0:1], s[4:5]
	v_mov_b32_e32 v7, v12
	s_delay_alu instid0(VALU_DEP_2)
	v_mov_b32_e32 v9, v13
	v_mad_co_u64_u32 v[12:13], null, s10, v69, 0
	v_mov_b32_e32 v5, v0
	ds_load_b128 v[0:3], v25
	v_lshlrev_b64_e32 v[14:15], 4, v[6:7]
	v_lshlrev_b64_e32 v[8:9], 4, v[8:9]
	;; [unrolled: 1-line block ×3, first 2 shown]
	v_mad_co_u64_u32 v[16:17], null, s11, v70, v[11:12]
	s_delay_alu instid0(VALU_DEP_2) | instskip(SKIP_1) | instid1(VALU_DEP_3)
	v_add_co_u32 v26, vcc_lo, s0, v4
	s_wait_alu 0xfffd
	v_add_co_ci_u32_e32 v27, vcc_lo, s1, v5, vcc_lo
	ds_load_b128 v[4:7], v25 offset:144
	v_add_co_u32 v14, vcc_lo, v26, v14
	s_wait_alu 0xfffd
	v_add_co_ci_u32_e32 v15, vcc_lo, v27, v15, vcc_lo
	v_mov_b32_e32 v11, v16
	s_wait_dscnt 0x1
	global_store_b128 v[14:15], v[0:3], off
	v_add_co_u32 v1, vcc_lo, v26, v8
	v_mov_b32_e32 v0, v13
	s_wait_alu 0xfffd
	v_add_co_ci_u32_e32 v2, vcc_lo, v27, v9, vcc_lo
	v_mad_co_u64_u32 v[14:15], null, s10, v68, 0
	s_delay_alu instid0(VALU_DEP_3)
	v_mad_co_u64_u32 v[8:9], null, s11, v69, v[0:1]
	v_lshlrev_b64_e32 v[9:10], 4, v[10:11]
	s_wait_dscnt 0x0
	global_store_b128 v[1:2], v[4:7], off
	ds_load_b128 v[0:3], v25 offset:288
	ds_load_b128 v[4:7], v25 offset:432
	v_dual_mov_b32 v13, v8 :: v_dual_mov_b32 v8, v15
	v_add_co_u32 v16, vcc_lo, v26, v9
	s_wait_alu 0xfffd
	v_add_co_ci_u32_e32 v17, vcc_lo, v27, v10, vcc_lo
	s_delay_alu instid0(VALU_DEP_3)
	v_mad_co_u64_u32 v[18:19], null, s11, v68, v[8:9]
	v_lshlrev_b64_e32 v[12:13], 4, v[12:13]
	v_mad_co_u64_u32 v[19:20], null, s10, v67, 0
	ds_load_b128 v[8:11], v25 offset:576
	v_add_co_u32 v12, vcc_lo, v26, v12
	s_wait_alu 0xfffd
	v_add_co_ci_u32_e32 v13, vcc_lo, v27, v13, vcc_lo
	s_wait_dscnt 0x2
	global_store_b128 v[16:17], v[0:3], off
	v_mad_co_u64_u32 v[16:17], null, s10, v64, 0
	v_dual_mov_b32 v15, v18 :: v_dual_mov_b32 v0, v20
	s_wait_dscnt 0x1
	global_store_b128 v[12:13], v[4:7], off
	v_lshlrev_b64_e32 v[1:2], 4, v[14:15]
	v_mad_co_u64_u32 v[14:15], null, s10, v66, 0
	s_delay_alu instid0(VALU_DEP_2) | instskip(SKIP_4) | instid1(VALU_DEP_4)
	v_mad_co_u64_u32 v[4:5], null, s11, v67, v[0:1]
	v_mad_co_u64_u32 v[5:6], null, s10, v65, 0
	v_add_co_u32 v12, vcc_lo, v26, v1
	s_wait_alu 0xfffd
	v_add_co_ci_u32_e32 v13, vcc_lo, v27, v2, vcc_lo
	v_mov_b32_e32 v20, v4
	ds_load_b128 v[0:3], v25 offset:720
	v_mov_b32_e32 v4, v6
	s_wait_dscnt 0x1
	global_store_b128 v[12:13], v[8:11], off
	v_mov_b32_e32 v6, v15
	v_lshlrev_b64_e32 v[7:8], 4, v[19:20]
	v_mad_co_u64_u32 v[9:10], null, s11, v65, v[4:5]
	v_mov_b32_e32 v4, v17
	s_delay_alu instid0(VALU_DEP_3) | instskip(SKIP_1) | instid1(VALU_DEP_4)
	v_mad_co_u64_u32 v[10:11], null, s11, v66, v[6:7]
	v_add_co_u32 v18, vcc_lo, v26, v7
	v_mov_b32_e32 v6, v9
	s_delay_alu instid0(VALU_DEP_4)
	v_mad_co_u64_u32 v[20:21], null, s11, v64, v[4:5]
	s_wait_alu 0xfffd
	v_add_co_ci_u32_e32 v19, vcc_lo, v27, v8, vcc_lo
	v_mov_b32_e32 v15, v10
	v_lshlrev_b64_e32 v[21:22], 4, v[5:6]
	ds_load_b128 v[4:7], v25 offset:864
	ds_load_b128 v[8:11], v25 offset:1008
	v_mov_b32_e32 v17, v20
	v_lshlrev_b64_e32 v[23:24], 4, v[14:15]
	ds_load_b128 v[12:15], v25 offset:1152
	v_add_co_u32 v20, vcc_lo, v26, v21
	v_lshlrev_b64_e32 v[16:17], 4, v[16:17]
	s_wait_alu 0xfffd
	v_add_co_ci_u32_e32 v21, vcc_lo, v27, v22, vcc_lo
	v_add_co_u32 v22, vcc_lo, v26, v23
	s_wait_alu 0xfffd
	v_add_co_ci_u32_e32 v23, vcc_lo, v27, v24, vcc_lo
	v_add_co_u32 v16, vcc_lo, v26, v16
	s_wait_alu 0xfffd
	v_add_co_ci_u32_e32 v17, vcc_lo, v27, v17, vcc_lo
	s_wait_dscnt 0x3
	global_store_b128 v[18:19], v[0:3], off
	s_wait_dscnt 0x2
	global_store_b128 v[20:21], v[4:7], off
	;; [unrolled: 2-line block ×4, first 2 shown]
.LBB0_6:
	s_nop 0
	s_sendmsg sendmsg(MSG_DEALLOC_VGPRS)
	s_endpgm
	.section	.rodata,"a",@progbits
	.p2align	6, 0x0
	.amdhsa_kernel fft_rtc_fwd_len81_factors_3_9_3_wgs_189_tpt_9_dim2_dp_op_CI_CI_sbcc_twdbase8_3step
		.amdhsa_group_segment_fixed_size 0
		.amdhsa_private_segment_fixed_size 0
		.amdhsa_kernarg_size 104
		.amdhsa_user_sgpr_count 2
		.amdhsa_user_sgpr_dispatch_ptr 0
		.amdhsa_user_sgpr_queue_ptr 0
		.amdhsa_user_sgpr_kernarg_segment_ptr 1
		.amdhsa_user_sgpr_dispatch_id 0
		.amdhsa_user_sgpr_private_segment_size 0
		.amdhsa_wavefront_size32 1
		.amdhsa_uses_dynamic_stack 0
		.amdhsa_enable_private_segment 0
		.amdhsa_system_sgpr_workgroup_id_x 1
		.amdhsa_system_sgpr_workgroup_id_y 0
		.amdhsa_system_sgpr_workgroup_id_z 0
		.amdhsa_system_sgpr_workgroup_info 0
		.amdhsa_system_vgpr_workitem_id 0
		.amdhsa_next_free_vgpr 139
		.amdhsa_next_free_sgpr 28
		.amdhsa_reserve_vcc 1
		.amdhsa_float_round_mode_32 0
		.amdhsa_float_round_mode_16_64 0
		.amdhsa_float_denorm_mode_32 3
		.amdhsa_float_denorm_mode_16_64 3
		.amdhsa_fp16_overflow 0
		.amdhsa_workgroup_processor_mode 1
		.amdhsa_memory_ordered 1
		.amdhsa_forward_progress 0
		.amdhsa_round_robin_scheduling 0
		.amdhsa_exception_fp_ieee_invalid_op 0
		.amdhsa_exception_fp_denorm_src 0
		.amdhsa_exception_fp_ieee_div_zero 0
		.amdhsa_exception_fp_ieee_overflow 0
		.amdhsa_exception_fp_ieee_underflow 0
		.amdhsa_exception_fp_ieee_inexact 0
		.amdhsa_exception_int_div_zero 0
	.end_amdhsa_kernel
	.text
.Lfunc_end0:
	.size	fft_rtc_fwd_len81_factors_3_9_3_wgs_189_tpt_9_dim2_dp_op_CI_CI_sbcc_twdbase8_3step, .Lfunc_end0-fft_rtc_fwd_len81_factors_3_9_3_wgs_189_tpt_9_dim2_dp_op_CI_CI_sbcc_twdbase8_3step
                                        ; -- End function
	.section	.AMDGPU.csdata,"",@progbits
; Kernel info:
; codeLenInByte = 6992
; NumSgprs: 30
; NumVgprs: 139
; ScratchSize: 0
; MemoryBound: 0
; FloatMode: 240
; IeeeMode: 1
; LDSByteSize: 0 bytes/workgroup (compile time only)
; SGPRBlocks: 3
; VGPRBlocks: 17
; NumSGPRsForWavesPerEU: 30
; NumVGPRsForWavesPerEU: 139
; Occupancy: 10
; WaveLimiterHint : 1
; COMPUTE_PGM_RSRC2:SCRATCH_EN: 0
; COMPUTE_PGM_RSRC2:USER_SGPR: 2
; COMPUTE_PGM_RSRC2:TRAP_HANDLER: 0
; COMPUTE_PGM_RSRC2:TGID_X_EN: 1
; COMPUTE_PGM_RSRC2:TGID_Y_EN: 0
; COMPUTE_PGM_RSRC2:TGID_Z_EN: 0
; COMPUTE_PGM_RSRC2:TIDIG_COMP_CNT: 0
	.text
	.p2alignl 7, 3214868480
	.fill 96, 4, 3214868480
	.type	__hip_cuid_9ab93e76d93f005,@object ; @__hip_cuid_9ab93e76d93f005
	.section	.bss,"aw",@nobits
	.globl	__hip_cuid_9ab93e76d93f005
__hip_cuid_9ab93e76d93f005:
	.byte	0                               ; 0x0
	.size	__hip_cuid_9ab93e76d93f005, 1

	.ident	"AMD clang version 19.0.0git (https://github.com/RadeonOpenCompute/llvm-project roc-6.4.0 25133 c7fe45cf4b819c5991fe208aaa96edf142730f1d)"
	.section	".note.GNU-stack","",@progbits
	.addrsig
	.addrsig_sym __hip_cuid_9ab93e76d93f005
	.amdgpu_metadata
---
amdhsa.kernels:
  - .args:
      - .actual_access:  read_only
        .address_space:  global
        .offset:         0
        .size:           8
        .value_kind:     global_buffer
      - .address_space:  global
        .offset:         8
        .size:           8
        .value_kind:     global_buffer
      - .actual_access:  read_only
        .address_space:  global
        .offset:         16
        .size:           8
        .value_kind:     global_buffer
      - .actual_access:  read_only
        .address_space:  global
        .offset:         24
        .size:           8
        .value_kind:     global_buffer
      - .actual_access:  read_only
        .address_space:  global
        .offset:         32
        .size:           8
        .value_kind:     global_buffer
      - .offset:         40
        .size:           8
        .value_kind:     by_value
      - .actual_access:  read_only
        .address_space:  global
        .offset:         48
        .size:           8
        .value_kind:     global_buffer
      - .actual_access:  read_only
        .address_space:  global
        .offset:         56
        .size:           8
        .value_kind:     global_buffer
      - .offset:         64
        .size:           4
        .value_kind:     by_value
      - .actual_access:  read_only
        .address_space:  global
        .offset:         72
        .size:           8
        .value_kind:     global_buffer
      - .actual_access:  read_only
        .address_space:  global
        .offset:         80
        .size:           8
        .value_kind:     global_buffer
      - .actual_access:  read_only
        .address_space:  global
        .offset:         88
        .size:           8
        .value_kind:     global_buffer
      - .actual_access:  write_only
        .address_space:  global
        .offset:         96
        .size:           8
        .value_kind:     global_buffer
    .group_segment_fixed_size: 0
    .kernarg_segment_align: 8
    .kernarg_segment_size: 104
    .language:       OpenCL C
    .language_version:
      - 2
      - 0
    .max_flat_workgroup_size: 189
    .name:           fft_rtc_fwd_len81_factors_3_9_3_wgs_189_tpt_9_dim2_dp_op_CI_CI_sbcc_twdbase8_3step
    .private_segment_fixed_size: 0
    .sgpr_count:     30
    .sgpr_spill_count: 0
    .symbol:         fft_rtc_fwd_len81_factors_3_9_3_wgs_189_tpt_9_dim2_dp_op_CI_CI_sbcc_twdbase8_3step.kd
    .uniform_work_group_size: 1
    .uses_dynamic_stack: false
    .vgpr_count:     139
    .vgpr_spill_count: 0
    .wavefront_size: 32
    .workgroup_processor_mode: 1
amdhsa.target:   amdgcn-amd-amdhsa--gfx1201
amdhsa.version:
  - 1
  - 2
...

	.end_amdgpu_metadata
